;; amdgpu-corpus repo=ROCm/rocFFT kind=compiled arch=gfx950 opt=O3
	.text
	.amdgcn_target "amdgcn-amd-amdhsa--gfx950"
	.amdhsa_code_object_version 6
	.protected	fft_rtc_fwd_len624_factors_13_4_6_2_wgs_52_tpt_52_sp_op_CI_CI_sbrr_dirReg ; -- Begin function fft_rtc_fwd_len624_factors_13_4_6_2_wgs_52_tpt_52_sp_op_CI_CI_sbrr_dirReg
	.globl	fft_rtc_fwd_len624_factors_13_4_6_2_wgs_52_tpt_52_sp_op_CI_CI_sbrr_dirReg
	.p2align	8
	.type	fft_rtc_fwd_len624_factors_13_4_6_2_wgs_52_tpt_52_sp_op_CI_CI_sbrr_dirReg,@function
fft_rtc_fwd_len624_factors_13_4_6_2_wgs_52_tpt_52_sp_op_CI_CI_sbrr_dirReg: ; @fft_rtc_fwd_len624_factors_13_4_6_2_wgs_52_tpt_52_sp_op_CI_CI_sbrr_dirReg
; %bb.0:
	s_load_dwordx4 s[12:15], s[0:1], 0x18
	s_load_dwordx4 s[8:11], s[0:1], 0x0
	;; [unrolled: 1-line block ×3, first 2 shown]
	v_mul_u32_u24_e32 v1, 0x4ed, v0
	v_add_u32_sdwa v10, s2, v1 dst_sel:DWORD dst_unused:UNUSED_PAD src0_sel:DWORD src1_sel:WORD_1
	s_waitcnt lgkmcnt(0)
	s_load_dwordx2 s[18:19], s[12:13], 0x0
	s_load_dwordx2 s[16:17], s[14:15], 0x0
	v_mov_b32_e32 v6, 0
	v_cmp_lt_u64_e64 s[2:3], s[10:11], 2
	v_mov_b32_e32 v11, v6
	s_and_b64 vcc, exec, s[2:3]
	v_mov_b64_e32 v[8:9], 0
	s_cbranch_vccnz .LBB0_8
; %bb.1:
	s_load_dwordx2 s[2:3], s[0:1], 0x10
	s_add_u32 s20, s14, 8
	s_addc_u32 s21, s15, 0
	s_add_u32 s22, s12, 8
	s_addc_u32 s23, s13, 0
	s_waitcnt lgkmcnt(0)
	s_add_u32 s24, s2, 8
	v_mov_b64_e32 v[8:9], 0
	s_addc_u32 s25, s3, 0
	s_mov_b64 s[26:27], 1
	v_mov_b64_e32 v[4:5], v[8:9]
.LBB0_2:                                ; =>This Inner Loop Header: Depth=1
	s_load_dwordx2 s[28:29], s[24:25], 0x0
                                        ; implicit-def: $vgpr2_vgpr3
	s_waitcnt lgkmcnt(0)
	v_or_b32_e32 v7, s29, v11
	v_cmp_ne_u64_e32 vcc, 0, v[6:7]
	s_and_saveexec_b64 s[2:3], vcc
	s_xor_b64 s[30:31], exec, s[2:3]
	s_cbranch_execz .LBB0_4
; %bb.3:                                ;   in Loop: Header=BB0_2 Depth=1
	v_cvt_f32_u32_e32 v1, s28
	v_cvt_f32_u32_e32 v2, s29
	s_sub_u32 s2, 0, s28
	s_subb_u32 s3, 0, s29
	v_fmac_f32_e32 v1, 0x4f800000, v2
	v_rcp_f32_e32 v1, v1
	s_nop 0
	v_mul_f32_e32 v1, 0x5f7ffffc, v1
	v_mul_f32_e32 v2, 0x2f800000, v1
	v_trunc_f32_e32 v2, v2
	v_fmac_f32_e32 v1, 0xcf800000, v2
	v_cvt_u32_f32_e32 v7, v2
	v_cvt_u32_f32_e32 v1, v1
	v_mul_lo_u32 v2, s2, v7
	v_mul_hi_u32 v12, s2, v1
	v_mul_lo_u32 v3, s3, v1
	v_add_u32_e32 v12, v12, v2
	v_mul_lo_u32 v14, s2, v1
	v_add_u32_e32 v15, v12, v3
	v_mul_hi_u32 v2, v1, v14
	v_mul_hi_u32 v13, v1, v15
	v_mul_lo_u32 v12, v1, v15
	v_mov_b32_e32 v3, v6
	v_lshl_add_u64 v[2:3], v[2:3], 0, v[12:13]
	v_mul_hi_u32 v13, v7, v14
	v_mul_lo_u32 v14, v7, v14
	v_add_co_u32_e32 v2, vcc, v2, v14
	v_mul_hi_u32 v12, v7, v15
	s_nop 0
	v_addc_co_u32_e32 v2, vcc, v3, v13, vcc
	v_mov_b32_e32 v3, v6
	s_nop 0
	v_addc_co_u32_e32 v13, vcc, 0, v12, vcc
	v_mul_lo_u32 v12, v7, v15
	v_lshl_add_u64 v[2:3], v[2:3], 0, v[12:13]
	v_add_co_u32_e32 v1, vcc, v1, v2
	v_mul_lo_u32 v12, s2, v1
	s_nop 0
	v_addc_co_u32_e32 v7, vcc, v7, v3, vcc
	v_mul_lo_u32 v2, s2, v7
	v_mul_hi_u32 v3, s2, v1
	v_add_u32_e32 v2, v3, v2
	v_mul_lo_u32 v3, s3, v1
	v_add_u32_e32 v14, v2, v3
	v_mul_hi_u32 v16, v7, v12
	v_mul_lo_u32 v17, v7, v12
	v_mul_hi_u32 v3, v1, v14
	v_mul_lo_u32 v2, v1, v14
	v_mul_hi_u32 v12, v1, v12
	v_mov_b32_e32 v13, v6
	v_lshl_add_u64 v[2:3], v[12:13], 0, v[2:3]
	v_add_co_u32_e32 v2, vcc, v2, v17
	v_mul_hi_u32 v15, v7, v14
	s_nop 0
	v_addc_co_u32_e32 v2, vcc, v3, v16, vcc
	v_mul_lo_u32 v12, v7, v14
	s_nop 0
	v_addc_co_u32_e32 v13, vcc, 0, v15, vcc
	v_mov_b32_e32 v3, v6
	v_lshl_add_u64 v[2:3], v[2:3], 0, v[12:13]
	v_add_co_u32_e32 v1, vcc, v1, v2
	v_mul_hi_u32 v12, v10, v1
	s_nop 0
	v_addc_co_u32_e32 v7, vcc, v7, v3, vcc
	v_mad_u64_u32 v[2:3], s[2:3], v10, v7, 0
	v_mov_b32_e32 v13, v6
	v_lshl_add_u64 v[2:3], v[12:13], 0, v[2:3]
	v_mad_u64_u32 v[14:15], s[2:3], v11, v1, 0
	v_add_co_u32_e32 v1, vcc, v2, v14
	v_mad_u64_u32 v[12:13], s[2:3], v11, v7, 0
	s_nop 0
	v_addc_co_u32_e32 v2, vcc, v3, v15, vcc
	v_mov_b32_e32 v3, v6
	s_nop 0
	v_addc_co_u32_e32 v13, vcc, 0, v13, vcc
	v_lshl_add_u64 v[2:3], v[2:3], 0, v[12:13]
	v_mul_lo_u32 v1, s29, v2
	v_mul_lo_u32 v7, s28, v3
	v_mad_u64_u32 v[12:13], s[2:3], s28, v2, 0
	v_add3_u32 v1, v13, v7, v1
	v_sub_u32_e32 v7, v11, v1
	v_mov_b32_e32 v13, s29
	v_sub_co_u32_e32 v16, vcc, v10, v12
	v_lshl_add_u64 v[14:15], v[2:3], 0, 1
	s_nop 0
	v_subb_co_u32_e64 v7, s[2:3], v7, v13, vcc
	v_subrev_co_u32_e64 v12, s[2:3], s28, v16
	v_subb_co_u32_e32 v1, vcc, v11, v1, vcc
	s_nop 0
	v_subbrev_co_u32_e64 v7, s[2:3], 0, v7, s[2:3]
	v_cmp_le_u32_e64 s[2:3], s29, v7
	v_cmp_le_u32_e32 vcc, s29, v1
	s_nop 0
	v_cndmask_b32_e64 v13, 0, -1, s[2:3]
	v_cmp_le_u32_e64 s[2:3], s28, v12
	s_nop 1
	v_cndmask_b32_e64 v12, 0, -1, s[2:3]
	v_cmp_eq_u32_e64 s[2:3], s29, v7
	s_nop 1
	v_cndmask_b32_e64 v7, v13, v12, s[2:3]
	v_lshl_add_u64 v[12:13], v[2:3], 0, 2
	v_cmp_ne_u32_e64 s[2:3], 0, v7
	s_nop 1
	v_cndmask_b32_e64 v7, v15, v13, s[2:3]
	v_cndmask_b32_e64 v13, 0, -1, vcc
	v_cmp_le_u32_e32 vcc, s28, v16
	s_nop 1
	v_cndmask_b32_e64 v15, 0, -1, vcc
	v_cmp_eq_u32_e32 vcc, s29, v1
	s_nop 1
	v_cndmask_b32_e32 v1, v13, v15, vcc
	v_cmp_ne_u32_e32 vcc, 0, v1
	v_cndmask_b32_e64 v1, v14, v12, s[2:3]
	s_nop 0
	v_cndmask_b32_e32 v3, v3, v7, vcc
	v_cndmask_b32_e32 v2, v2, v1, vcc
.LBB0_4:                                ;   in Loop: Header=BB0_2 Depth=1
	s_andn2_saveexec_b64 s[2:3], s[30:31]
	s_cbranch_execz .LBB0_6
; %bb.5:                                ;   in Loop: Header=BB0_2 Depth=1
	v_cvt_f32_u32_e32 v1, s28
	s_sub_i32 s30, 0, s28
	v_rcp_iflag_f32_e32 v1, v1
	s_nop 0
	v_mul_f32_e32 v1, 0x4f7ffffe, v1
	v_cvt_u32_f32_e32 v1, v1
	v_mul_lo_u32 v2, s30, v1
	v_mul_hi_u32 v2, v1, v2
	v_add_u32_e32 v1, v1, v2
	v_mul_hi_u32 v1, v10, v1
	v_mul_lo_u32 v2, v1, s28
	v_sub_u32_e32 v2, v10, v2
	v_add_u32_e32 v3, 1, v1
	v_subrev_u32_e32 v7, s28, v2
	v_cmp_le_u32_e32 vcc, s28, v2
	s_nop 1
	v_cndmask_b32_e32 v2, v2, v7, vcc
	v_cndmask_b32_e32 v1, v1, v3, vcc
	v_add_u32_e32 v3, 1, v1
	v_cmp_le_u32_e32 vcc, s28, v2
	s_nop 1
	v_cndmask_b32_e32 v2, v1, v3, vcc
	v_mov_b32_e32 v3, v6
.LBB0_6:                                ;   in Loop: Header=BB0_2 Depth=1
	s_or_b64 exec, exec, s[2:3]
	v_mad_u64_u32 v[12:13], s[2:3], v2, s28, 0
	s_load_dwordx2 s[2:3], s[22:23], 0x0
	v_mul_lo_u32 v1, v3, s28
	v_mul_lo_u32 v7, v2, s29
	s_load_dwordx2 s[28:29], s[20:21], 0x0
	s_add_u32 s26, s26, 1
	v_add3_u32 v1, v13, v7, v1
	v_sub_co_u32_e32 v7, vcc, v10, v12
	s_addc_u32 s27, s27, 0
	s_nop 0
	v_subb_co_u32_e32 v1, vcc, v11, v1, vcc
	s_add_u32 s20, s20, 8
	s_waitcnt lgkmcnt(0)
	v_mul_lo_u32 v10, s2, v1
	v_mul_lo_u32 v11, s3, v7
	v_mad_u64_u32 v[8:9], s[2:3], s2, v7, v[8:9]
	s_addc_u32 s21, s21, 0
	v_add3_u32 v9, v11, v9, v10
	v_mul_lo_u32 v1, s28, v1
	v_mul_lo_u32 v10, s29, v7
	v_mad_u64_u32 v[4:5], s[2:3], s28, v7, v[4:5]
	s_add_u32 s22, s22, 8
	v_add3_u32 v5, v10, v5, v1
	s_addc_u32 s23, s23, 0
	v_mov_b64_e32 v[10:11], s[10:11]
	s_add_u32 s24, s24, 8
	v_cmp_ge_u64_e32 vcc, s[26:27], v[10:11]
	s_addc_u32 s25, s25, 0
	s_cbranch_vccnz .LBB0_9
; %bb.7:                                ;   in Loop: Header=BB0_2 Depth=1
	v_mov_b64_e32 v[10:11], v[2:3]
	s_branch .LBB0_2
.LBB0_8:
	v_mov_b64_e32 v[4:5], v[8:9]
	v_mov_b64_e32 v[2:3], v[10:11]
.LBB0_9:
	s_load_dwordx2 s[0:1], s[0:1], 0x28
	s_lshl_b64 s[20:21], s[10:11], 3
	s_mov_b32 s10, 0x4ec4ec5
	v_mul_hi_u32 v1, v0, s10
	v_mul_u32_u24_e32 v1, 52, v1
	v_sub_u32_e32 v6, v0, v1
	s_add_u32 s2, s14, s20
	s_waitcnt lgkmcnt(0)
	v_cmp_gt_u64_e32 vcc, s[0:1], v[2:3]
	v_cmp_gt_u32_e64 s[0:1], 48, v6
	s_addc_u32 s3, s15, s21
	s_and_b64 s[14:15], vcc, s[0:1]
	v_mov_b32_e32 v0, 0
	v_mov_b32_e32 v1, 0
                                        ; implicit-def: $vgpr28
                                        ; implicit-def: $vgpr24
                                        ; implicit-def: $vgpr20
                                        ; implicit-def: $vgpr18
                                        ; implicit-def: $vgpr16
                                        ; implicit-def: $vgpr10
                                        ; implicit-def: $vgpr22
                                        ; implicit-def: $vgpr26
                                        ; implicit-def: $vgpr30
                                        ; implicit-def: $vgpr32
                                        ; implicit-def: $vgpr12
                                        ; implicit-def: $vgpr14
	s_and_saveexec_b64 s[10:11], s[14:15]
	s_cbranch_execz .LBB0_11
; %bb.10:
	s_add_u32 s12, s12, s20
	s_addc_u32 s13, s13, s21
	s_load_dwordx2 s[12:13], s[12:13], 0x0
	s_waitcnt lgkmcnt(0)
	v_mul_lo_u32 v7, s13, v2
	v_mul_lo_u32 v10, s12, v3
	v_mad_u64_u32 v[0:1], s[12:13], s12, v2, 0
	v_add3_u32 v1, v1, v10, v7
	v_mad_u64_u32 v[10:11], s[12:13], s18, v6, 0
	v_mov_b32_e32 v12, v11
	v_mad_u64_u32 v[12:13], s[12:13], s19, v6, v[12:13]
	v_lshl_add_u64 v[0:1], v[0:1], 3, s[4:5]
	v_add_u32_e32 v7, 48, v6
	v_mov_b32_e32 v11, v12
	v_lshl_add_u64 v[8:9], v[8:9], 3, v[0:1]
	v_mad_u64_u32 v[0:1], s[4:5], s18, v7, 0
	v_lshl_add_u64 v[16:17], v[10:11], 3, v[8:9]
	v_mov_b32_e32 v10, v1
	v_mad_u64_u32 v[10:11], s[4:5], s19, v7, v[10:11]
	v_mov_b32_e32 v1, v10
	v_add_u32_e32 v7, 0x60, v6
	v_lshl_add_u64 v[18:19], v[0:1], 3, v[8:9]
	v_mad_u64_u32 v[0:1], s[4:5], s18, v7, 0
	v_mov_b32_e32 v10, v1
	v_mad_u64_u32 v[10:11], s[4:5], s19, v7, v[10:11]
	v_mov_b32_e32 v1, v10
	v_add_u32_e32 v7, 0x90, v6
	v_lshl_add_u64 v[20:21], v[0:1], 3, v[8:9]
	v_mad_u64_u32 v[0:1], s[4:5], s18, v7, 0
	v_mov_b32_e32 v10, v1
	v_mad_u64_u32 v[10:11], s[4:5], s19, v7, v[10:11]
	v_mov_b32_e32 v1, v10
	v_or_b32_e32 v7, 0xc0, v6
	v_lshl_add_u64 v[22:23], v[0:1], 3, v[8:9]
	global_load_dwordx2 v[0:1], v[16:17], off
	global_load_dwordx2 v[12:13], v[18:19], off
	;; [unrolled: 1-line block ×4, first 2 shown]
	v_mad_u64_u32 v[16:17], s[4:5], s18, v7, 0
	v_mov_b32_e32 v18, v17
	v_mad_u64_u32 v[18:19], s[4:5], s19, v7, v[18:19]
	v_mov_b32_e32 v17, v18
	v_add_u32_e32 v7, 0xf0, v6
	v_lshl_add_u64 v[34:35], v[16:17], 3, v[8:9]
	v_mad_u64_u32 v[16:17], s[4:5], s18, v7, 0
	v_mov_b32_e32 v18, v17
	v_mad_u64_u32 v[18:19], s[4:5], s19, v7, v[18:19]
	v_mov_b32_e32 v17, v18
	v_add_u32_e32 v7, 0x120, v6
	v_lshl_add_u64 v[36:37], v[16:17], 3, v[8:9]
	;; [unrolled: 6-line block ×3, first 2 shown]
	v_mad_u64_u32 v[16:17], s[4:5], s18, v7, 0
	v_mov_b32_e32 v18, v17
	v_mad_u64_u32 v[18:19], s[4:5], s19, v7, v[18:19]
	v_mov_b32_e32 v17, v18
	v_or_b32_e32 v7, 0x180, v6
	v_lshl_add_u64 v[40:41], v[16:17], 3, v[8:9]
	v_mad_u64_u32 v[16:17], s[4:5], s18, v7, 0
	v_mov_b32_e32 v18, v17
	v_mad_u64_u32 v[18:19], s[4:5], s19, v7, v[18:19]
	v_mov_b32_e32 v17, v18
	v_add_u32_e32 v7, 0x1b0, v6
	v_lshl_add_u64 v[42:43], v[16:17], 3, v[8:9]
	v_mad_u64_u32 v[16:17], s[4:5], s18, v7, 0
	v_mov_b32_e32 v18, v17
	v_mad_u64_u32 v[18:19], s[4:5], s19, v7, v[18:19]
	v_mov_b32_e32 v17, v18
	v_add_u32_e32 v7, 0x1e0, v6
	;; [unrolled: 6-line block ×3, first 2 shown]
	v_lshl_add_u64 v[46:47], v[16:17], 3, v[8:9]
	v_mad_u64_u32 v[16:17], s[4:5], s18, v7, 0
	v_mov_b32_e32 v18, v17
	v_mad_u64_u32 v[18:19], s[4:5], s19, v7, v[18:19]
	v_mov_b32_e32 v17, v18
	v_or_b32_e32 v7, 0x240, v6
	v_lshl_add_u64 v[48:49], v[16:17], 3, v[8:9]
	v_mad_u64_u32 v[16:17], s[4:5], s18, v7, 0
	v_mov_b32_e32 v18, v17
	v_mad_u64_u32 v[18:19], s[4:5], s19, v7, v[18:19]
	v_mov_b32_e32 v17, v18
	v_lshl_add_u64 v[8:9], v[16:17], 3, v[8:9]
	global_load_dwordx2 v[22:23], v[34:35], off
	global_load_dwordx2 v[26:27], v[36:37], off
	;; [unrolled: 1-line block ×9, first 2 shown]
.LBB0_11:
	s_or_b64 exec, exec, s[10:11]
	s_and_saveexec_b64 s[4:5], s[0:1]
	s_cbranch_execz .LBB0_13
; %bb.12:
	s_waitcnt vmcnt(11)
	v_pk_add_f32 v[8:9], v[0:1], v[12:13]
	s_movk_i32 s0, 0x68
	s_waitcnt vmcnt(10)
	v_pk_add_f32 v[8:9], v[8:9], v[14:15]
	v_mad_u32_u24 v7, v6, s0, 0
	s_waitcnt vmcnt(9)
	v_pk_add_f32 v[8:9], v[8:9], v[10:11]
	s_waitcnt vmcnt(0)
	v_pk_add_f32 v[78:79], v[12:13], v[28:29] neg_lo:[0,1] neg_hi:[0,1]
	v_pk_add_f32 v[8:9], v[8:9], v[22:23]
	s_mov_b32 s0, 0xbeedf032
	v_pk_add_f32 v[8:9], v[8:9], v[26:27]
	v_pk_add_f32 v[76:77], v[12:13], v[28:29]
	;; [unrolled: 1-line block ×5, first 2 shown]
	v_pk_add_f32 v[70:71], v[10:11], v[20:21] neg_lo:[0,1] neg_hi:[0,1]
	v_pk_add_f32 v[8:9], v[16:17], v[8:9]
	s_mov_b32 s12, 0x3f62ad3f
	v_pk_add_f32 v[8:9], v[18:19], v[8:9]
	v_pk_mul_f32 v[10:11], v[78:79], s[0:1] op_sel_hi:[1,0]
	v_pk_add_f32 v[8:9], v[20:21], v[8:9]
	v_pk_add_f32 v[74:75], v[14:15], v[24:25] neg_lo:[0,1] neg_hi:[0,1]
	v_pk_add_f32 v[8:9], v[24:25], v[8:9]
	s_mov_b32 s24, 0xbf52af12
	v_pk_add_f32 v[34:35], v[28:29], v[8:9]
	v_pk_fma_f32 v[8:9], v[76:77], s[12:13], v[10:11] op_sel:[0,0,1] op_sel_hi:[1,0,0] neg_lo:[0,0,1] neg_hi:[0,0,1]
	v_pk_fma_f32 v[10:11], v[76:77], s[12:13], v[10:11] op_sel:[0,0,1] op_sel_hi:[1,0,0]
	v_pk_add_f32 v[72:73], v[14:15], v[24:25]
	v_mov_b32_e32 v12, v8
	v_mov_b32_e32 v13, v11
	s_mov_b32 s10, 0x3f116cb1
	v_pk_mul_f32 v[14:15], v[74:75], s[24:25] op_sel_hi:[1,0]
	v_pk_add_f32 v[60:61], v[26:27], v[16:17]
	v_pk_add_f32 v[62:63], v[26:27], v[16:17] neg_lo:[0,1] neg_hi:[0,1]
	v_pk_add_f32 v[16:17], v[0:1], v[12:13]
	v_pk_fma_f32 v[12:13], v[72:73], s[10:11], v[14:15] op_sel:[0,0,1] op_sel_hi:[1,0,0] neg_lo:[0,0,1] neg_hi:[0,0,1]
	v_pk_fma_f32 v[14:15], v[72:73], s[10:11], v[14:15] op_sel:[0,0,1] op_sel_hi:[1,0,0]
	v_pk_add_f32 v[64:65], v[22:23], v[18:19]
	v_pk_add_f32 v[66:67], v[22:23], v[18:19] neg_lo:[0,1] neg_hi:[0,1]
	v_mov_b32_e32 v18, v12
	v_mov_b32_e32 v19, v15
	s_mov_b32 s34, 0xbf7e222b
	v_pk_add_f32 v[20:21], v[16:17], v[18:19]
	s_mov_b32 s0, 0x3df6dbef
	v_pk_mul_f32 v[18:19], v[70:71], s[34:35] op_sel_hi:[1,0]
	s_mov_b32 s18, 0xbf6f5d39
	v_pk_fma_f32 v[16:17], v[68:69], s[0:1], v[18:19] op_sel:[0,0,1] op_sel_hi:[1,0,0] neg_lo:[0,0,1] neg_hi:[0,0,1]
	v_pk_fma_f32 v[18:19], v[68:69], s[0:1], v[18:19] op_sel:[0,0,1] op_sel_hi:[1,0,0]
	v_mov_b32_e32 v22, v16
	v_mov_b32_e32 v23, v19
	v_pk_add_f32 v[24:25], v[22:23], v[20:21]
	s_mov_b32 s14, 0xbeb58ec6
	v_pk_mul_f32 v[22:23], v[66:67], s[18:19] op_sel_hi:[1,0]
	s_mov_b32 s22, 0xbf29c268
	v_pk_fma_f32 v[20:21], v[64:65], s[14:15], v[22:23] op_sel:[0,0,1] op_sel_hi:[1,0,0] neg_lo:[0,0,1] neg_hi:[0,0,1]
	v_pk_fma_f32 v[22:23], v[64:65], s[14:15], v[22:23] op_sel:[0,0,1] op_sel_hi:[1,0,0]
	v_mov_b32_e32 v26, v20
	v_mov_b32_e32 v27, v23
	v_pk_add_f32 v[28:29], v[26:27], v[24:25]
	s_mov_b32 s20, 0xbf3f9e67
	v_pk_mul_f32 v[26:27], v[62:63], s[22:23] op_sel_hi:[1,0]
	v_pk_add_f32 v[56:57], v[30:31], v[32:33]
	v_pk_fma_f32 v[24:25], v[60:61], s[20:21], v[26:27] op_sel:[0,0,1] op_sel_hi:[1,0,0] neg_lo:[0,0,1] neg_hi:[0,0,1]
	v_pk_fma_f32 v[26:27], v[60:61], s[20:21], v[26:27] op_sel:[0,0,1] op_sel_hi:[1,0,0]
	v_pk_add_f32 v[58:59], v[30:31], v[32:33] neg_lo:[0,1] neg_hi:[0,1]
	v_mov_b32_e32 v30, v24
	v_mov_b32_e32 v31, v27
	s_mov_b32 s28, 0xbe750f2a
	v_pk_add_f32 v[32:33], v[30:31], v[28:29]
	s_mov_b32 s26, 0xbf788fa5
	v_pk_mul_f32 v[30:31], v[58:59], s[28:29] op_sel_hi:[1,0]
	v_pk_mul_f32 v[38:39], v[74:75], s[18:19] op_sel_hi:[1,0]
	v_pk_fma_f32 v[28:29], v[56:57], s[26:27], v[30:31] op_sel:[0,0,1] op_sel_hi:[1,0,0] neg_lo:[0,0,1] neg_hi:[0,0,1]
	v_pk_fma_f32 v[30:31], v[56:57], s[26:27], v[30:31] op_sel:[0,0,1] op_sel_hi:[1,0,0]
	v_mov_b32_e32 v36, v28
	v_mov_b32_e32 v37, v31
	v_pk_add_f32 v[32:33], v[36:37], v[32:33]
	ds_write2_b64 v7, v[34:35], v[32:33] offset1:1
	v_pk_mul_f32 v[34:35], v[78:79], s[24:25] op_sel_hi:[1,0]
	s_mov_b32 s38, 0x3f29c268
	v_pk_fma_f32 v[32:33], v[76:77], s[10:11], v[34:35] op_sel:[0,0,1] op_sel_hi:[1,0,0] neg_lo:[0,0,1] neg_hi:[0,0,1]
	v_pk_fma_f32 v[34:35], v[76:77], s[10:11], v[34:35] op_sel:[0,0,1] op_sel_hi:[1,0,0]
	v_mov_b32_e32 v36, v32
	v_mov_b32_e32 v37, v35
	v_pk_add_f32 v[40:41], v[0:1], v[36:37]
	v_pk_fma_f32 v[36:37], v[72:73], s[14:15], v[38:39] op_sel:[0,0,1] op_sel_hi:[1,0,0] neg_lo:[0,0,1] neg_hi:[0,0,1]
	v_pk_fma_f32 v[38:39], v[72:73], s[14:15], v[38:39] op_sel:[0,0,1] op_sel_hi:[1,0,0]
	v_mov_b32_e32 v42, v36
	v_mov_b32_e32 v43, v39
	v_pk_add_f32 v[44:45], v[40:41], v[42:43]
	v_pk_mul_f32 v[42:43], v[70:71], s[28:29] op_sel_hi:[1,0]
	s_mov_b32 s30, 0x3f7e222b
	v_pk_fma_f32 v[40:41], v[68:69], s[26:27], v[42:43] op_sel:[0,0,1] op_sel_hi:[1,0,0] neg_lo:[0,0,1] neg_hi:[0,0,1]
	v_pk_fma_f32 v[42:43], v[68:69], s[26:27], v[42:43] op_sel:[0,0,1] op_sel_hi:[1,0,0]
	v_mov_b32_e32 v46, v40
	v_mov_b32_e32 v47, v43
	v_pk_add_f32 v[48:49], v[46:47], v[44:45]
	v_pk_mul_f32 v[46:47], v[66:67], s[38:39] op_sel_hi:[1,0]
	s_mov_b32 s36, 0x3eedf032
	v_pk_fma_f32 v[44:45], v[64:65], s[20:21], v[46:47] op_sel:[0,0,1] op_sel_hi:[1,0,0] neg_lo:[0,0,1] neg_hi:[0,0,1]
	v_pk_fma_f32 v[46:47], v[64:65], s[20:21], v[46:47] op_sel:[0,0,1] op_sel_hi:[1,0,0]
	v_mov_b32_e32 v50, v44
	v_mov_b32_e32 v51, v47
	v_pk_add_f32 v[52:53], v[50:51], v[48:49]
	v_pk_mul_f32 v[50:51], v[62:63], s[30:31] op_sel_hi:[1,0]
	v_pk_mul_f32 v[88:89], v[74:75], s[28:29] op_sel_hi:[1,0]
	v_pk_fma_f32 v[48:49], v[60:61], s[0:1], v[50:51] op_sel:[0,0,1] op_sel_hi:[1,0,0] neg_lo:[0,0,1] neg_hi:[0,0,1]
	v_pk_fma_f32 v[50:51], v[60:61], s[0:1], v[50:51] op_sel:[0,0,1] op_sel_hi:[1,0,0]
	v_mov_b32_e32 v54, v48
	v_mov_b32_e32 v55, v51
	v_pk_add_f32 v[80:81], v[54:55], v[52:53]
	v_pk_mul_f32 v[54:55], v[58:59], s[36:37] op_sel_hi:[1,0]
	v_pk_fma_f32 v[90:91], v[72:73], s[26:27], v[88:89] op_sel:[0,0,1] op_sel_hi:[1,0,0] neg_lo:[0,0,1] neg_hi:[0,0,1]
	v_pk_fma_f32 v[52:53], v[56:57], s[12:13], v[54:55] op_sel:[0,0,1] op_sel_hi:[1,0,0] neg_lo:[0,0,1] neg_hi:[0,0,1]
	v_pk_fma_f32 v[54:55], v[56:57], s[12:13], v[54:55] op_sel:[0,0,1] op_sel_hi:[1,0,0]
	v_mov_b32_e32 v82, v52
	v_mov_b32_e32 v83, v55
	v_pk_add_f32 v[82:83], v[82:83], v[80:81]
	v_pk_mul_f32 v[80:81], v[78:79], s[34:35] op_sel_hi:[1,0]
	v_pk_fma_f32 v[88:89], v[72:73], s[26:27], v[88:89] op_sel:[0,0,1] op_sel_hi:[1,0,0]
	v_pk_fma_f32 v[84:85], v[76:77], s[0:1], v[80:81] op_sel:[0,0,1] op_sel_hi:[1,0,0] neg_lo:[0,0,1] neg_hi:[0,0,1]
	v_pk_fma_f32 v[80:81], v[76:77], s[0:1], v[80:81] op_sel:[0,0,1] op_sel_hi:[1,0,0]
	v_mov_b32_e32 v86, v84
	v_mov_b32_e32 v87, v81
	v_pk_add_f32 v[86:87], v[0:1], v[86:87]
	v_mov_b32_e32 v92, v90
	v_mov_b32_e32 v93, v89
	s_mov_b32 s40, 0x3f6f5d39
	v_pk_add_f32 v[86:87], v[86:87], v[92:93]
	v_pk_mul_f32 v[92:93], v[70:71], s[40:41] op_sel_hi:[1,0]
	v_pk_mul_f32 v[110:111], v[74:75], s[38:39] op_sel_hi:[1,0]
	v_pk_fma_f32 v[94:95], v[68:69], s[14:15], v[92:93] op_sel:[0,0,1] op_sel_hi:[1,0,0] neg_lo:[0,0,1] neg_hi:[0,0,1]
	v_pk_fma_f32 v[92:93], v[68:69], s[14:15], v[92:93] op_sel:[0,0,1] op_sel_hi:[1,0,0]
	v_mov_b32_e32 v96, v94
	v_mov_b32_e32 v97, v93
	v_pk_add_f32 v[86:87], v[96:97], v[86:87]
	v_pk_mul_f32 v[96:97], v[66:67], s[36:37] op_sel_hi:[1,0]
	v_pk_fma_f32 v[112:113], v[72:73], s[20:21], v[110:111] op_sel:[0,0,1] op_sel_hi:[1,0,0] neg_lo:[0,0,1] neg_hi:[0,0,1]
	v_pk_fma_f32 v[98:99], v[64:65], s[12:13], v[96:97] op_sel:[0,0,1] op_sel_hi:[1,0,0] neg_lo:[0,0,1] neg_hi:[0,0,1]
	v_pk_fma_f32 v[96:97], v[64:65], s[12:13], v[96:97] op_sel:[0,0,1] op_sel_hi:[1,0,0]
	v_mov_b32_e32 v100, v98
	v_mov_b32_e32 v101, v97
	v_pk_add_f32 v[86:87], v[100:101], v[86:87]
	v_pk_mul_f32 v[100:101], v[62:63], s[24:25] op_sel_hi:[1,0]
	v_pk_fma_f32 v[110:111], v[72:73], s[20:21], v[110:111] op_sel:[0,0,1] op_sel_hi:[1,0,0]
	v_pk_fma_f32 v[102:103], v[60:61], s[10:11], v[100:101] op_sel:[0,0,1] op_sel_hi:[1,0,0] neg_lo:[0,0,1] neg_hi:[0,0,1]
	v_pk_fma_f32 v[100:101], v[60:61], s[10:11], v[100:101] op_sel:[0,0,1] op_sel_hi:[1,0,0]
	v_mov_b32_e32 v104, v102
	v_mov_b32_e32 v105, v101
	v_pk_add_f32 v[86:87], v[104:105], v[86:87]
	v_pk_mul_f32 v[104:105], v[58:59], s[22:23] op_sel_hi:[1,0]
	v_mov_b32_e32 v114, v112
	v_pk_fma_f32 v[106:107], v[56:57], s[20:21], v[104:105] op_sel:[0,0,1] op_sel_hi:[1,0,0] neg_lo:[0,0,1] neg_hi:[0,0,1]
	v_pk_fma_f32 v[104:105], v[56:57], s[20:21], v[104:105] op_sel:[0,0,1] op_sel_hi:[1,0,0]
	v_mov_b32_e32 v108, v106
	v_mov_b32_e32 v109, v105
	v_pk_add_f32 v[86:87], v[108:109], v[86:87]
	ds_write2_b64 v7, v[82:83], v[86:87] offset0:2 offset1:3
	v_pk_mul_f32 v[82:83], v[78:79], s[18:19] op_sel_hi:[1,0]
	v_mov_b32_e32 v115, v111
	v_pk_fma_f32 v[86:87], v[76:77], s[14:15], v[82:83] op_sel:[0,0,1] op_sel_hi:[1,0,0] neg_lo:[0,0,1] neg_hi:[0,0,1]
	v_pk_fma_f32 v[82:83], v[76:77], s[14:15], v[82:83] op_sel:[0,0,1] op_sel_hi:[1,0,0]
	v_mov_b32_e32 v108, v86
	v_mov_b32_e32 v109, v83
	v_pk_add_f32 v[108:109], v[0:1], v[108:109]
	s_mov_b32 s38, 0x3f52af12
	v_pk_add_f32 v[108:109], v[108:109], v[114:115]
	v_pk_mul_f32 v[114:115], v[70:71], s[36:37] op_sel_hi:[1,0]
	v_pk_mul_f32 v[136:137], v[74:75], s[30:31] op_sel_hi:[1,0]
	v_pk_fma_f32 v[116:117], v[68:69], s[12:13], v[114:115] op_sel:[0,0,1] op_sel_hi:[1,0,0] neg_lo:[0,0,1] neg_hi:[0,0,1]
	v_pk_fma_f32 v[114:115], v[68:69], s[12:13], v[114:115] op_sel:[0,0,1] op_sel_hi:[1,0,0]
	v_mov_b32_e32 v118, v116
	v_mov_b32_e32 v119, v115
	v_pk_add_f32 v[108:109], v[118:119], v[108:109]
	v_pk_mul_f32 v[118:119], v[66:67], s[34:35] op_sel_hi:[1,0]
	s_mov_b32 s34, 0x3e750f2a
	v_pk_fma_f32 v[120:121], v[64:65], s[0:1], v[118:119] op_sel:[0,0,1] op_sel_hi:[1,0,0] neg_lo:[0,0,1] neg_hi:[0,0,1]
	v_pk_fma_f32 v[118:119], v[64:65], s[0:1], v[118:119] op_sel:[0,0,1] op_sel_hi:[1,0,0]
	v_mov_b32_e32 v122, v120
	v_mov_b32_e32 v123, v119
	v_pk_add_f32 v[108:109], v[122:123], v[108:109]
	v_pk_mul_f32 v[122:123], v[62:63], s[34:35] op_sel_hi:[1,0]
	v_pk_fma_f32 v[138:139], v[72:73], s[0:1], v[136:137] op_sel:[0,0,1] op_sel_hi:[1,0,0] neg_lo:[0,0,1] neg_hi:[0,0,1]
	v_pk_fma_f32 v[124:125], v[60:61], s[26:27], v[122:123] op_sel:[0,0,1] op_sel_hi:[1,0,0] neg_lo:[0,0,1] neg_hi:[0,0,1]
	v_pk_fma_f32 v[122:123], v[60:61], s[26:27], v[122:123] op_sel:[0,0,1] op_sel_hi:[1,0,0]
	v_mov_b32_e32 v126, v124
	v_mov_b32_e32 v127, v123
	v_pk_add_f32 v[108:109], v[126:127], v[108:109]
	v_pk_mul_f32 v[126:127], v[58:59], s[38:39] op_sel_hi:[1,0]
	v_pk_fma_f32 v[136:137], v[72:73], s[0:1], v[136:137] op_sel:[0,0,1] op_sel_hi:[1,0,0]
	v_pk_fma_f32 v[128:129], v[56:57], s[10:11], v[126:127] op_sel:[0,0,1] op_sel_hi:[1,0,0] neg_lo:[0,0,1] neg_hi:[0,0,1]
	v_pk_fma_f32 v[126:127], v[56:57], s[10:11], v[126:127] op_sel:[0,0,1] op_sel_hi:[1,0,0]
	v_mov_b32_e32 v130, v128
	v_mov_b32_e32 v131, v127
	v_pk_add_f32 v[108:109], v[130:131], v[108:109]
	v_pk_mul_f32 v[130:131], v[78:79], s[22:23] op_sel_hi:[1,0]
	v_mov_b32_e32 v140, v138
	v_pk_fma_f32 v[132:133], v[76:77], s[20:21], v[130:131] op_sel:[0,0,1] op_sel_hi:[1,0,0] neg_lo:[0,0,1] neg_hi:[0,0,1]
	v_pk_fma_f32 v[130:131], v[76:77], s[20:21], v[130:131] op_sel:[0,0,1] op_sel_hi:[1,0,0]
	v_mov_b32_e32 v134, v132
	v_mov_b32_e32 v135, v131
	v_pk_add_f32 v[134:135], v[0:1], v[134:135]
	v_mov_b32_e32 v141, v137
	v_pk_add_f32 v[134:135], v[134:135], v[140:141]
	v_pk_mul_f32 v[140:141], v[70:71], s[24:25] op_sel_hi:[1,0]
	v_pk_mul_f32 v[78:79], v[78:79], s[28:29] op_sel_hi:[1,0]
	v_pk_fma_f32 v[142:143], v[68:69], s[10:11], v[140:141] op_sel:[0,0,1] op_sel_hi:[1,0,0] neg_lo:[0,0,1] neg_hi:[0,0,1]
	v_pk_fma_f32 v[140:141], v[68:69], s[10:11], v[140:141] op_sel:[0,0,1] op_sel_hi:[1,0,0]
	v_mov_b32_e32 v144, v142
	v_mov_b32_e32 v145, v141
	v_pk_add_f32 v[134:135], v[144:145], v[134:135]
	v_pk_mul_f32 v[144:145], v[66:67], s[34:35] op_sel_hi:[1,0]
	v_pk_mul_f32 v[74:75], v[74:75], s[36:37] op_sel_hi:[1,0]
	v_pk_fma_f32 v[146:147], v[64:65], s[26:27], v[144:145] op_sel:[0,0,1] op_sel_hi:[1,0,0] neg_lo:[0,0,1] neg_hi:[0,0,1]
	v_pk_fma_f32 v[144:145], v[64:65], s[26:27], v[144:145] op_sel:[0,0,1] op_sel_hi:[1,0,0]
	v_mov_b32_e32 v148, v146
	;; [unrolled: 7-line block ×4, first 2 shown]
	v_mov_b32_e32 v157, v153
	v_pk_add_f32 v[134:135], v[156:157], v[134:135]
	ds_write2_b64 v7, v[108:109], v[134:135] offset0:4 offset1:5
	v_pk_fma_f32 v[108:109], v[76:77], s[26:27], v[78:79] op_sel:[0,0,1] op_sel_hi:[1,0,0] neg_lo:[0,0,1] neg_hi:[0,0,1]
	v_pk_fma_f32 v[76:77], v[76:77], s[26:27], v[78:79] op_sel:[0,0,1] op_sel_hi:[1,0,0]
	v_pk_fma_f32 v[78:79], v[72:73], s[12:13], v[74:75] op_sel:[0,0,1] op_sel_hi:[1,0,0] neg_lo:[0,0,1] neg_hi:[0,0,1]
	v_pk_fma_f32 v[72:73], v[72:73], s[12:13], v[74:75] op_sel:[0,0,1] op_sel_hi:[1,0,0]
	v_mov_b32_e32 v74, v108
	v_mov_b32_e32 v75, v77
	v_pk_add_f32 v[74:75], v[0:1], v[74:75]
	v_mov_b32_e32 v134, v78
	v_mov_b32_e32 v135, v73
	v_pk_add_f32 v[74:75], v[74:75], v[134:135]
	v_pk_fma_f32 v[134:135], v[68:69], s[20:21], v[70:71] op_sel:[0,0,1] op_sel_hi:[1,0,0] neg_lo:[0,0,1] neg_hi:[0,0,1]
	v_pk_fma_f32 v[68:69], v[68:69], s[20:21], v[70:71] op_sel:[0,0,1] op_sel_hi:[1,0,0]
	v_mov_b32_e32 v70, v134
	v_mov_b32_e32 v71, v69
	v_pk_add_f32 v[70:71], v[70:71], v[74:75]
	v_pk_fma_f32 v[74:75], v[64:65], s[10:11], v[66:67] op_sel:[0,0,1] op_sel_hi:[1,0,0] neg_lo:[0,0,1] neg_hi:[0,0,1]
	v_pk_fma_f32 v[64:65], v[64:65], s[10:11], v[66:67] op_sel:[0,0,1] op_sel_hi:[1,0,0]
	v_mov_b32_e32 v66, v74
	v_mov_b32_e32 v67, v65
	v_pk_mul_f32 v[62:63], v[62:63], s[18:19] op_sel_hi:[1,0]
	v_pk_add_f32 v[66:67], v[66:67], v[70:71]
	v_pk_fma_f32 v[70:71], v[60:61], s[14:15], v[62:63] op_sel:[0,0,1] op_sel_hi:[1,0,0] neg_lo:[0,0,1] neg_hi:[0,0,1]
	v_pk_fma_f32 v[60:61], v[60:61], s[14:15], v[62:63] op_sel:[0,0,1] op_sel_hi:[1,0,0]
	v_mov_b32_e32 v62, v70
	v_mov_b32_e32 v63, v61
	v_pk_mul_f32 v[58:59], v[58:59], s[30:31] op_sel_hi:[1,0]
	v_pk_add_f32 v[62:63], v[62:63], v[66:67]
	v_pk_fma_f32 v[66:67], v[56:57], s[0:1], v[58:59] op_sel:[0,0,1] op_sel_hi:[1,0,0] neg_lo:[0,0,1] neg_hi:[0,0,1]
	v_pk_fma_f32 v[56:57], v[56:57], s[0:1], v[58:59] op_sel:[0,0,1] op_sel_hi:[1,0,0]
	v_mov_b32_e32 v58, v66
	v_mov_b32_e32 v59, v57
	v_mov_b32_e32 v77, v109
	v_pk_add_f32 v[58:59], v[58:59], v[62:63]
	v_mov_b32_e32 v73, v79
	v_pk_add_f32 v[62:63], v[0:1], v[76:77]
	v_mov_b32_e32 v69, v135
	;; [unrolled: 2-line block ×7, first 2 shown]
	ds_write2_b64 v7, v[58:59], v[56:57] offset0:6 offset1:7
	v_mov_b32_e32 v137, v139
	v_pk_add_f32 v[56:57], v[0:1], v[130:131]
	v_mov_b32_e32 v111, v113
	v_pk_add_f32 v[58:59], v[0:1], v[82:83]
	v_pk_add_f32 v[56:57], v[56:57], v[136:137]
	v_mov_b32_e32 v141, v143
	v_pk_add_f32 v[58:59], v[58:59], v[110:111]
	v_mov_b32_e32 v115, v117
	;; [unrolled: 2-line block ×8, first 2 shown]
	v_pk_add_f32 v[56:57], v[152:153], v[56:57]
	v_pk_add_f32 v[58:59], v[126:127], v[58:59]
	v_mov_b32_e32 v81, v85
	v_mov_b32_e32 v35, v33
	;; [unrolled: 1-line block ×3, first 2 shown]
	ds_write2_b64 v7, v[56:57], v[58:59] offset0:8 offset1:9
	v_mov_b32_e32 v89, v91
	v_pk_add_f32 v[56:57], v[0:1], v[80:81]
	v_pk_add_f32 v[32:33], v[0:1], v[34:35]
	v_mov_b32_e32 v39, v37
	v_pk_add_f32 v[0:1], v[0:1], v[10:11]
	v_mov_b32_e32 v15, v13
	v_pk_add_f32 v[56:57], v[56:57], v[88:89]
	v_mov_b32_e32 v93, v95
	v_pk_add_f32 v[32:33], v[32:33], v[38:39]
	v_mov_b32_e32 v43, v41
	v_pk_add_f32 v[0:1], v[0:1], v[14:15]
	v_mov_b32_e32 v19, v17
	v_pk_add_f32 v[56:57], v[92:93], v[56:57]
	v_mov_b32_e32 v97, v99
	v_pk_add_f32 v[32:33], v[42:43], v[32:33]
	v_mov_b32_e32 v47, v45
	v_pk_add_f32 v[0:1], v[18:19], v[0:1]
	v_mov_b32_e32 v23, v21
	v_pk_add_f32 v[56:57], v[96:97], v[56:57]
	v_mov_b32_e32 v101, v103
	v_pk_add_f32 v[32:33], v[46:47], v[32:33]
	v_mov_b32_e32 v51, v49
	v_pk_add_f32 v[0:1], v[22:23], v[0:1]
	v_mov_b32_e32 v27, v25
	v_pk_add_f32 v[56:57], v[100:101], v[56:57]
	v_mov_b32_e32 v105, v107
	v_pk_add_f32 v[32:33], v[50:51], v[32:33]
	v_mov_b32_e32 v55, v53
	v_pk_add_f32 v[0:1], v[26:27], v[0:1]
	v_mov_b32_e32 v31, v29
	v_pk_add_f32 v[56:57], v[104:105], v[56:57]
	v_pk_add_f32 v[32:33], v[54:55], v[32:33]
	;; [unrolled: 1-line block ×3, first 2 shown]
	ds_write2_b64 v7, v[56:57], v[32:33] offset0:10 offset1:11
	ds_write_b64 v7, v[0:1] offset:96
.LBB0_13:
	s_or_b64 exec, exec, s[4:5]
	s_load_dwordx2 s[0:1], s[2:3], 0x0
	s_movk_i32 s2, 0x4f
	s_waitcnt vmcnt(12)
	v_mul_lo_u16_sdwa v0, v6, s2 dst_sel:DWORD dst_unused:UNUSED_PAD src0_sel:BYTE_0 src1_sel:DWORD
	v_lshrrev_b16_e32 v1, 10, v0
	s_waitcnt vmcnt(9)
	v_add_u32_e32 v10, 52, v6
	v_add_u32_e32 v11, 0x68, v6
	v_mul_lo_u16_e32 v0, 13, v1
	v_sub_u16_e32 v7, v6, v0
	v_mul_lo_u16_sdwa v0, v10, s2 dst_sel:DWORD dst_unused:UNUSED_PAD src0_sel:BYTE_0 src1_sel:DWORD
	v_mul_lo_u16_sdwa v8, v11, s2 dst_sel:DWORD dst_unused:UNUSED_PAD src0_sel:BYTE_0 src1_sel:DWORD
	v_lshrrev_b16_e32 v55, 10, v0
	v_lshrrev_b16_e32 v57, 10, v8
	v_mul_lo_u16_e32 v0, 13, v55
	v_mul_lo_u16_e32 v8, 13, v57
	v_mov_b32_e32 v54, 3
	v_sub_u16_e32 v56, v10, v0
	v_sub_u16_e32 v58, v11, v8
	v_mul_u32_u24_sdwa v0, v56, v54 dst_sel:DWORD dst_unused:UNUSED_PAD src0_sel:BYTE_0 src1_sel:DWORD
	v_mul_u32_u24_sdwa v8, v58, v54 dst_sel:DWORD dst_unused:UNUSED_PAD src0_sel:BYTE_0 src1_sel:DWORD
	v_lshlrev_b32_e32 v12, 3, v8
	v_lshlrev_b32_e32 v0, 3, v0
	s_waitcnt lgkmcnt(0)
	; wave barrier
	s_waitcnt lgkmcnt(0)
	global_load_dwordx2 v[8:9], v12, s[8:9] offset:16
	global_load_dwordx4 v[14:17], v12, s[8:9]
	global_load_dwordx2 v[50:51], v0, s[8:9] offset:16
	global_load_dwordx4 v[18:21], v0, s[8:9]
	v_mul_u32_u24_sdwa v0, v7, v54 dst_sel:DWORD dst_unused:UNUSED_PAD src0_sel:BYTE_0 src1_sel:DWORD
	v_lshlrev_b32_e32 v0, 3, v0
	global_load_dwordx4 v[22:25], v0, s[8:9]
	global_load_dwordx2 v[52:53], v0, s[8:9] offset:16
	v_lshl_add_u32 v12, v6, 3, 0
	s_waitcnt vmcnt(6)
	ds_read2_b64 v[26:29], v12 offset0:104 offset1:156
	v_add_u32_e32 v13, 0x800, v12
	v_add_u32_e32 v72, 0x400, v12
	;; [unrolled: 1-line block ×3, first 2 shown]
	ds_read2_b64 v[30:33], v12 offset1:52
	ds_read2_b64 v[34:37], v13 offset0:56 offset1:108
	ds_read2_b64 v[38:41], v13 offset0:160 offset1:212
	;; [unrolled: 1-line block ×4, first 2 shown]
	v_mul_u32_u24_e32 v1, 0x1a0, v1
	v_mul_u32_u24_e32 v55, 0x1a0, v55
	;; [unrolled: 1-line block ×3, first 2 shown]
	v_lshlrev_b32_sdwa v7, v54, v7 dst_sel:DWORD dst_unused:UNUSED_PAD src0_sel:DWORD src1_sel:BYTE_0
	v_lshlrev_b32_sdwa v56, v54, v56 dst_sel:DWORD dst_unused:UNUSED_PAD src0_sel:DWORD src1_sel:BYTE_0
	;; [unrolled: 1-line block ×3, first 2 shown]
	v_add3_u32 v1, 0, v1, v7
	v_add3_u32 v7, 0, v55, v56
	;; [unrolled: 1-line block ×3, first 2 shown]
	s_waitcnt lgkmcnt(0)
	; wave barrier
	s_waitcnt lgkmcnt(0)
	s_mov_b32 s2, 0x3f5db3d7
	s_mov_b32 s3, 0xbf5db3d7
	s_waitcnt vmcnt(5)
	v_pk_mul_f32 v[58:59], v[48:49], v[8:9] op_sel:[0,1]
	s_waitcnt vmcnt(4)
	v_pk_mul_f32 v[54:55], v[44:45], v[14:15] op_sel:[0,1]
	v_mov_b32_e32 v56, v17
	s_waitcnt vmcnt(2)
	v_pk_mul_f32 v[60:61], v[18:19], v[42:43] op_sel:[0,1]
	v_pk_mul_f32 v[62:63], v[20:21], v[36:37] op_sel:[0,1]
	v_pk_fma_f32 v[70:71], v[44:45], v[14:15], v[54:55] op_sel:[0,0,1] op_sel_hi:[1,1,0] neg_lo:[0,0,1] neg_hi:[0,0,1]
	v_pk_fma_f32 v[14:15], v[44:45], v[14:15], v[54:55] op_sel:[0,0,1] op_sel_hi:[1,0,0]
	v_pk_mul_f32 v[44:45], v[38:39], v[56:57] op_sel_hi:[1,0]
	v_pk_fma_f32 v[54:55], v[48:49], v[8:9], v[58:59] op_sel:[0,0,1] op_sel_hi:[1,1,0] neg_lo:[0,0,1] neg_hi:[0,0,1]
	v_pk_fma_f32 v[8:9], v[48:49], v[8:9], v[58:59] op_sel:[0,0,1] op_sel_hi:[1,0,0]
	v_pk_fma_f32 v[48:49], v[18:19], v[42:43], v[60:61] op_sel:[0,0,1] op_sel_hi:[1,1,0] neg_lo:[0,0,1] neg_hi:[0,0,1]
	v_pk_fma_f32 v[18:19], v[18:19], v[42:43], v[60:61] op_sel:[0,0,1] op_sel_hi:[1,0,0]
	v_pk_fma_f32 v[42:43], v[20:21], v[36:37], v[62:63] op_sel:[0,0,1] op_sel_hi:[1,1,0] neg_lo:[0,0,1] neg_hi:[0,0,1]
	v_pk_fma_f32 v[20:21], v[20:21], v[36:37], v[62:63] op_sel:[0,0,1] op_sel_hi:[1,0,0]
	v_pk_mul_f32 v[64:65], v[46:47], v[50:51] op_sel:[0,1]
	s_waitcnt vmcnt(1)
	v_pk_mul_f32 v[66:67], v[22:23], v[28:29] op_sel:[0,1]
	v_mov_b32_e32 v71, v15
	v_pk_fma_f32 v[14:15], v[38:39], v[16:17], v[44:45] op_sel:[0,0,1] op_sel_hi:[1,1,0] neg_lo:[0,0,1] neg_hi:[0,0,1]
	v_pk_fma_f32 v[16:17], v[38:39], v[16:17], v[44:45] op_sel:[0,0,1] op_sel_hi:[1,0,0]
	v_mov_b32_e32 v43, v21
	v_pk_fma_f32 v[36:37], v[46:47], v[50:51], v[64:65] op_sel:[0,0,1] op_sel_hi:[1,1,0] neg_lo:[0,0,1] neg_hi:[0,0,1]
	v_pk_fma_f32 v[46:47], v[46:47], v[50:51], v[64:65] op_sel:[0,0,1] op_sel_hi:[1,0,0]
	v_pk_fma_f32 v[50:51], v[22:23], v[28:29], v[66:67] op_sel:[0,0,1] op_sel_hi:[1,1,0] neg_lo:[0,0,1] neg_hi:[0,0,1]
	v_pk_fma_f32 v[22:23], v[22:23], v[28:29], v[66:67] op_sel:[0,0,1] op_sel_hi:[1,0,0]
	v_mov_b32_e32 v15, v17
	v_pk_add_f32 v[16:17], v[32:33], v[42:43] neg_lo:[0,1] neg_hi:[0,1]
	v_pk_mul_f32 v[68:69], v[24:25], v[34:35] op_sel:[0,1]
	v_mov_b32_e32 v51, v23
	v_pk_fma_f32 v[22:23], v[32:33], 2.0, v[16:17] op_sel_hi:[1,0,1] neg_lo:[0,0,1] neg_hi:[0,0,1]
	s_waitcnt vmcnt(0)
	v_pk_mul_f32 v[32:33], v[52:53], v[40:41] op_sel:[0,1]
	v_pk_fma_f32 v[28:29], v[24:25], v[34:35], v[68:69] op_sel:[0,0,1] op_sel_hi:[1,1,0] neg_lo:[0,0,1] neg_hi:[0,0,1]
	v_pk_fma_f32 v[24:25], v[24:25], v[34:35], v[68:69] op_sel:[0,0,1] op_sel_hi:[1,0,0]
	v_pk_fma_f32 v[34:35], v[52:53], v[40:41], v[32:33] op_sel:[0,0,1] op_sel_hi:[1,1,0] neg_lo:[0,0,1] neg_hi:[0,0,1]
	v_pk_fma_f32 v[32:33], v[52:53], v[40:41], v[32:33] op_sel:[0,0,1] op_sel_hi:[1,0,0]
	v_mov_b32_e32 v29, v25
	v_mov_b32_e32 v35, v33
	;; [unrolled: 1-line block ×4, first 2 shown]
	v_pk_add_f32 v[28:29], v[30:31], v[28:29] neg_lo:[0,1] neg_hi:[0,1]
	v_pk_add_f32 v[32:33], v[50:51], v[34:35] neg_lo:[0,1] neg_hi:[0,1]
	;; [unrolled: 1-line block ×3, first 2 shown]
	v_pk_fma_f32 v[30:31], v[30:31], 2.0, v[28:29] op_sel_hi:[1,0,1] neg_lo:[0,0,1] neg_hi:[0,0,1]
	v_pk_fma_f32 v[34:35], v[50:51], 2.0, v[32:33] op_sel_hi:[1,0,1] neg_lo:[0,0,1] neg_hi:[0,0,1]
	v_pk_add_f32 v[36:37], v[28:29], v[32:33] op_sel:[0,1] op_sel_hi:[1,0] neg_lo:[0,1] neg_hi:[0,1]
	v_pk_add_f32 v[32:33], v[28:29], v[32:33] op_sel:[0,1] op_sel_hi:[1,0]
	v_pk_add_f32 v[34:35], v[30:31], v[34:35] neg_lo:[0,1] neg_hi:[0,1]
	v_mov_b32_e32 v37, v33
	v_pk_fma_f32 v[30:31], v[30:31], 2.0, v[34:35] op_sel_hi:[1,0,1] neg_lo:[0,0,1] neg_hi:[0,0,1]
	v_pk_fma_f32 v[28:29], v[28:29], 2.0, v[36:37] op_sel_hi:[1,0,1] neg_lo:[0,0,1] neg_hi:[0,0,1]
	;; [unrolled: 1-line block ×3, first 2 shown]
	ds_write2_b64 v1, v[30:31], v[28:29] offset1:13
	ds_write2_b64 v1, v[34:35], v[36:37] offset0:26 offset1:39
	v_pk_add_f32 v[28:29], v[16:17], v[18:19] op_sel:[0,1] op_sel_hi:[1,0] neg_lo:[0,1] neg_hi:[0,1]
	v_pk_add_f32 v[18:19], v[16:17], v[18:19] op_sel:[0,1] op_sel_hi:[1,0]
	v_mov_b32_e32 v55, v9
	v_pk_add_f32 v[24:25], v[22:23], v[24:25] neg_lo:[0,1] neg_hi:[0,1]
	v_mov_b32_e32 v29, v19
	v_pk_add_f32 v[8:9], v[70:71], v[54:55] neg_lo:[0,1] neg_hi:[0,1]
	v_pk_add_f32 v[14:15], v[26:27], v[14:15] neg_lo:[0,1] neg_hi:[0,1]
	v_pk_fma_f32 v[22:23], v[22:23], 2.0, v[24:25] op_sel_hi:[1,0,1] neg_lo:[0,0,1] neg_hi:[0,0,1]
	v_pk_fma_f32 v[16:17], v[16:17], 2.0, v[28:29] op_sel_hi:[1,0,1] neg_lo:[0,0,1] neg_hi:[0,0,1]
	;; [unrolled: 1-line block ×4, first 2 shown]
	ds_write2_b64 v7, v[22:23], v[16:17] offset1:13
	ds_write2_b64 v7, v[24:25], v[28:29] offset0:26 offset1:39
	v_pk_add_f32 v[16:17], v[14:15], v[8:9] op_sel:[0,1] op_sel_hi:[1,0] neg_lo:[0,1] neg_hi:[0,1]
	v_pk_add_f32 v[8:9], v[14:15], v[8:9] op_sel:[0,1] op_sel_hi:[1,0]
	v_pk_add_f32 v[20:21], v[26:27], v[20:21] neg_lo:[0,1] neg_hi:[0,1]
	v_mov_b32_e32 v17, v9
	v_mul_u32_u24_e32 v1, 5, v6
	v_pk_fma_f32 v[26:27], v[26:27], 2.0, v[20:21] op_sel_hi:[1,0,1] neg_lo:[0,0,1] neg_hi:[0,0,1]
	v_pk_fma_f32 v[8:9], v[14:15], 2.0, v[16:17] op_sel_hi:[1,0,1] neg_lo:[0,0,1] neg_hi:[0,0,1]
	v_lshlrev_b32_e32 v1, 3, v1
	ds_write2_b64 v57, v[26:27], v[8:9] offset1:13
	ds_write2_b64 v57, v[20:21], v[16:17] offset0:26 offset1:39
	s_waitcnt lgkmcnt(0)
	; wave barrier
	s_waitcnt lgkmcnt(0)
	global_load_dwordx4 v[14:17], v1, s[8:9] offset:312
	global_load_dwordx4 v[18:21], v1, s[8:9] offset:328
	global_load_dwordx2 v[8:9], v1, s[8:9] offset:344
	ds_read2_b64 v[22:25], v12 offset0:104 offset1:156
	ds_read2_b64 v[26:29], v72 offset0:80 offset1:132
	;; [unrolled: 1-line block ×5, first 2 shown]
	ds_read2_b64 v[42:45], v12 offset1:52
	s_waitcnt lgkmcnt(0)
	; wave barrier
	s_waitcnt vmcnt(2) lgkmcnt(0)
	v_pk_mul_f32 v[46:47], v[14:15], v[22:23] op_sel:[0,1]
	v_pk_mul_f32 v[48:49], v[16:17], v[26:27] op_sel:[0,1]
	s_waitcnt vmcnt(1)
	v_pk_mul_f32 v[50:51], v[18:19], v[30:31] op_sel:[0,1]
	v_pk_mul_f32 v[52:53], v[20:21], v[34:35] op_sel:[0,1]
	s_waitcnt vmcnt(0)
	v_pk_mul_f32 v[54:55], v[8:9], v[38:39] op_sel:[0,1]
	v_pk_fma_f32 v[56:57], v[14:15], v[22:23], v[46:47] op_sel:[0,0,1] op_sel_hi:[1,1,0] neg_lo:[0,0,1] neg_hi:[0,0,1]
	v_pk_fma_f32 v[22:23], v[14:15], v[22:23], v[46:47] op_sel:[0,0,1] op_sel_hi:[1,0,0]
	v_pk_fma_f32 v[46:47], v[16:17], v[26:27], v[48:49] op_sel:[0,0,1] op_sel_hi:[1,1,0] neg_lo:[0,0,1] neg_hi:[0,0,1]
	v_pk_fma_f32 v[26:27], v[16:17], v[26:27], v[48:49] op_sel:[0,0,1] op_sel_hi:[1,0,0]
	;; [unrolled: 2-line block ×5, first 2 shown]
	v_mov_b32_e32 v47, v27
	v_mov_b32_e32 v49, v31
	;; [unrolled: 1-line block ×5, first 2 shown]
	v_pk_add_f32 v[30:31], v[46:47], v[50:51]
	v_pk_add_f32 v[34:35], v[46:47], v[50:51] neg_lo:[0,1] neg_hi:[0,1]
	v_pk_add_f32 v[38:39], v[48:49], v[52:53]
	v_pk_add_f32 v[22:23], v[42:43], v[46:47]
	v_pk_add_f32 v[46:47], v[48:49], v[52:53] neg_lo:[0,1] neg_hi:[0,1]
	v_pk_fma_f32 v[30:31], v[30:31], 0.5, v[42:43] op_sel_hi:[1,0,1] neg_lo:[1,0,0] neg_hi:[1,0,0]
	v_pk_mul_f32 v[34:35], v[34:35], s[2:3] op_sel_hi:[1,0]
	v_pk_fma_f32 v[38:39], v[38:39], 0.5, v[56:57] op_sel_hi:[1,0,1] neg_lo:[1,0,0] neg_hi:[1,0,0]
	v_pk_add_f32 v[26:27], v[56:57], v[48:49]
	v_pk_add_f32 v[48:49], v[34:35], v[30:31] op_sel:[1,0] op_sel_hi:[0,1]
	v_pk_add_f32 v[30:31], v[30:31], v[34:35] op_sel:[0,1] op_sel_hi:[1,0] neg_lo:[0,1] neg_hi:[0,1]
	v_pk_fma_f32 v[34:35], v[46:47], s[2:3], v[38:39] op_sel:[0,0,1] op_sel_hi:[1,0,0]
	v_pk_fma_f32 v[38:39], v[46:47], s[2:3], v[38:39] op_sel:[0,0,1] op_sel_hi:[1,0,0] neg_lo:[1,0,0] neg_hi:[1,0,0]
	v_pk_add_f32 v[22:23], v[22:23], v[50:51]
	v_mov_b32_e32 v50, v34
	v_mov_b32_e32 v51, v39
	v_mul_f32_e32 v7, 0xbf5db3d7, v35
	v_mul_f32_e32 v1, 0x3f5db3d7, v38
	v_fmac_f32_e32 v7, 0.5, v38
	v_pk_mul_f32 v[38:39], v[50:51], 0.5 op_sel_hi:[1,0]
	v_pk_add_f32 v[26:27], v[26:27], v[52:53]
	v_mov_b32_e32 v46, v30
	v_mov_b32_e32 v47, v49
	v_pk_fma_f32 v[38:39], v[50:51], s[2:3], v[38:39] op_sel:[0,0,1] op_sel_hi:[1,1,0] neg_lo:[0,0,1] neg_hi:[0,0,1]
	v_pk_add_f32 v[42:43], v[22:23], v[26:27]
	v_pk_add_f32 v[50:51], v[46:47], v[38:39]
	v_pk_add_f32 v[22:23], v[22:23], v[26:27] neg_lo:[0,1] neg_hi:[0,1]
	v_pk_add_f32 v[26:27], v[46:47], v[38:39] neg_lo:[0,1] neg_hi:[0,1]
	v_pk_mul_f32 v[38:39], v[24:25], v[14:15] op_sel:[0,1]
	v_fmac_f32_e32 v1, 0.5, v35
	v_pk_fma_f32 v[46:47], v[24:25], v[14:15], v[38:39] op_sel:[0,0,1] op_sel_hi:[1,1,0] neg_lo:[0,0,1] neg_hi:[0,0,1]
	v_pk_fma_f32 v[14:15], v[24:25], v[14:15], v[38:39] op_sel:[0,0,1] op_sel_hi:[1,0,0]
	v_add_f32_e32 v34, v48, v1
	v_mov_b32_e32 v14, v17
	v_mov_b32_e32 v47, v15
	v_pk_mul_f32 v[14:15], v[28:29], v[14:15] op_sel_hi:[1,0]
	v_add_f32_e32 v35, v31, v7
	v_pk_fma_f32 v[24:25], v[28:29], v[16:17], v[14:15] op_sel:[0,0,1] op_sel_hi:[1,1,0] neg_lo:[0,0,1] neg_hi:[0,0,1]
	v_pk_fma_f32 v[14:15], v[28:29], v[16:17], v[14:15] op_sel:[0,0,1] op_sel_hi:[1,0,0]
	v_sub_f32_e32 v30, v48, v1
	v_mov_b32_e32 v25, v15
	v_pk_mul_f32 v[14:15], v[32:33], v[18:19] op_sel:[0,1]
	v_sub_f32_e32 v31, v31, v7
	v_pk_fma_f32 v[16:17], v[32:33], v[18:19], v[14:15] op_sel:[0,0,1] op_sel_hi:[1,1,0] neg_lo:[0,0,1] neg_hi:[0,0,1]
	v_pk_fma_f32 v[14:15], v[32:33], v[18:19], v[14:15] op_sel:[0,0,1] op_sel_hi:[1,0,0]
	ds_write2_b64 v12, v[42:43], v[34:35] offset1:52
	ds_write2_b64 v12, v[50:51], v[22:23] offset0:104 offset1:156
	ds_write2_b64 v72, v[30:31], v[26:27] offset0:80 offset1:132
	v_mov_b32_e32 v14, v21
	v_mov_b32_e32 v17, v15
	v_pk_mul_f32 v[14:15], v[36:37], v[14:15] op_sel_hi:[1,0]
	s_nop 0
	v_pk_fma_f32 v[18:19], v[36:37], v[20:21], v[14:15] op_sel:[0,0,1] op_sel_hi:[1,1,0] neg_lo:[0,0,1] neg_hi:[0,0,1]
	v_pk_fma_f32 v[14:15], v[36:37], v[20:21], v[14:15] op_sel:[0,0,1] op_sel_hi:[1,0,0]
	s_nop 0
	v_mov_b32_e32 v19, v15
	v_pk_mul_f32 v[14:15], v[40:41], v[8:9] op_sel:[0,1]
	v_pk_add_f32 v[22:23], v[24:25], v[18:19]
	v_pk_fma_f32 v[20:21], v[40:41], v[8:9], v[14:15] op_sel:[0,0,1] op_sel_hi:[1,1,0] neg_lo:[0,0,1] neg_hi:[0,0,1]
	v_pk_fma_f32 v[8:9], v[40:41], v[8:9], v[14:15] op_sel:[0,0,1] op_sel_hi:[1,0,0]
	v_pk_add_f32 v[14:15], v[46:47], v[16:17]
	v_mov_b32_e32 v21, v9
	v_pk_add_f32 v[26:27], v[16:17], v[20:21]
	v_pk_add_f32 v[8:9], v[44:45], v[24:25]
	v_pk_fma_f32 v[26:27], v[26:27], 0.5, v[46:47] op_sel_hi:[1,0,1] neg_lo:[1,0,0] neg_hi:[1,0,0]
	v_pk_add_f32 v[16:17], v[16:17], v[20:21] neg_lo:[0,1] neg_hi:[0,1]
	v_pk_add_f32 v[8:9], v[8:9], v[18:19]
	v_pk_add_f32 v[14:15], v[14:15], v[20:21]
	v_pk_add_f32 v[18:19], v[24:25], v[18:19] neg_lo:[0,1] neg_hi:[0,1]
	v_pk_fma_f32 v[20:21], v[16:17], s[2:3], v[26:27] op_sel:[0,0,1] op_sel_hi:[1,0,0]
	v_pk_fma_f32 v[16:17], v[16:17], s[2:3], v[26:27] op_sel:[0,0,1] op_sel_hi:[1,0,0] neg_lo:[1,0,0] neg_hi:[1,0,0]
	v_pk_fma_f32 v[22:23], v[22:23], 0.5, v[44:45] op_sel_hi:[1,0,1] neg_lo:[1,0,0] neg_hi:[1,0,0]
	v_pk_mul_f32 v[18:19], v[18:19], s[2:3] op_sel_hi:[1,0]
	v_mov_b32_e32 v26, v20
	v_mov_b32_e32 v27, v17
	v_mul_f32_e32 v7, 0xbf5db3d7, v21
	v_pk_add_f32 v[24:25], v[18:19], v[22:23] op_sel:[1,0] op_sel_hi:[0,1]
	v_pk_add_f32 v[18:19], v[22:23], v[18:19] op_sel:[0,1] op_sel_hi:[1,0] neg_lo:[0,1] neg_hi:[0,1]
	v_mul_f32_e32 v1, 0x3f5db3d7, v16
	v_fmac_f32_e32 v7, 0.5, v16
	v_pk_mul_f32 v[16:17], v[26:27], 0.5 op_sel_hi:[1,0]
	v_mov_b32_e32 v22, v18
	v_mov_b32_e32 v23, v25
	v_pk_fma_f32 v[16:17], v[26:27], s[2:3], v[16:17] op_sel:[0,0,1] op_sel_hi:[1,1,0] neg_lo:[0,0,1] neg_hi:[0,0,1]
	v_pk_add_f32 v[28:29], v[8:9], v[14:15]
	v_fmac_f32_e32 v1, 0.5, v21
	v_pk_add_f32 v[26:27], v[22:23], v[16:17]
	v_pk_add_f32 v[8:9], v[8:9], v[14:15] neg_lo:[0,1] neg_hi:[0,1]
	v_add_f32_e32 v20, v24, v1
	v_add_f32_e32 v21, v19, v7
	v_sub_f32_e32 v18, v24, v1
	v_sub_f32_e32 v19, v19, v7
	ds_write2_b64 v13, v[26:27], v[8:9] offset0:160 offset1:212
	v_pk_add_f32 v[8:9], v[22:23], v[16:17] neg_lo:[0,1] neg_hi:[0,1]
	ds_write2_b64 v13, v[28:29], v[20:21] offset0:56 offset1:108
	ds_write2_b64 v0, v[18:19], v[8:9] offset0:8 offset1:60
	s_waitcnt lgkmcnt(0)
	; wave barrier
	s_waitcnt lgkmcnt(0)
	s_and_saveexec_b64 s[2:3], vcc
	s_cbranch_execz .LBB0_15
; %bb.14:
	v_mov_b32_e32 v7, 0
	v_lshl_add_u64 v[22:23], v[6:7], 3, s[8:9]
	global_load_dwordx2 v[24:25], v[22:23], off offset:2392
	global_load_dwordx2 v[26:27], v[22:23], off offset:2808
	v_mul_lo_u32 v7, s1, v2
	v_mul_lo_u32 v46, s0, v3
	v_mad_u64_u32 v[28:29], s[0:1], s0, v2, 0
	ds_read2_b64 v[0:3], v0 offset0:8 offset1:60
	ds_read_b32 v61, v12 offset:2084
	ds_read_b64 v[8:9], v12 offset:2080
	ds_read_b32 v64, v12 offset:1668
	ds_read_b64 v[30:31], v12 offset:1664
	global_load_dwordx2 v[32:33], v[22:23], off offset:3224
	ds_read2_b64 v[14:17], v13 offset0:160 offset1:212
	ds_read_b32 v65, v12 offset:1252
	ds_read_b64 v[34:35], v12 offset:1248
	ds_read_b32 v66, v12 offset:836
	ds_read_b64 v[36:37], v12 offset:832
	ds_read2_b64 v[18:21], v13 offset0:56 offset1:108
	ds_read_b64 v[38:39], v12
	ds_read_b32 v67, v12 offset:420
	ds_read_b64 v[40:41], v12 offset:416
	ds_read_b32 v68, v12 offset:4
	global_load_dwordx2 v[58:59], v[22:23], off offset:3640
	global_load_dwordx2 v[62:63], v[22:23], off offset:4056
	v_add_u32_e32 v69, 0x138, v6
	v_mad_u64_u32 v[12:13], s[0:1], s16, v6, 0
	v_mad_u64_u32 v[42:43], s[2:3], s16, v10, 0
	v_add3_u32 v29, v29, v46, v7
	v_mad_u64_u32 v[48:49], s[2:3], s16, v69, 0
	v_mov_b32_e32 v46, v13
	v_mov_b32_e32 v50, v43
	v_lshl_add_u64 v[28:29], v[28:29], 3, s[6:7]
	v_mov_b32_e32 v60, v49
	v_mad_u64_u32 v[46:47], s[2:3], s17, v6, v[46:47]
	v_mad_u64_u32 v[50:51], s[2:3], s17, v10, v[50:51]
	v_lshl_add_u64 v[4:5], v[4:5], 3, v[28:29]
	s_waitcnt lgkmcnt(13)
	v_mad_u64_u32 v[28:29], s[2:3], s17, v69, v[60:61]
	v_add_u32_e32 v70, 0x16c, v6
	v_mov_b32_e32 v13, v46
	v_mov_b32_e32 v43, v50
	;; [unrolled: 1-line block ×3, first 2 shown]
	v_mad_u64_u32 v[44:45], s[2:3], s16, v11, 0
	v_mad_u64_u32 v[52:53], s[2:3], s16, v70, 0
	v_lshl_add_u64 v[28:29], v[42:43], 3, v[4:5]
	v_lshl_add_u64 v[42:43], v[48:49], 3, v[4:5]
	v_mov_b32_e32 v54, v45
	v_mov_b32_e32 v10, v53
	v_mad_u64_u32 v[54:55], s[2:3], s17, v11, v[54:55]
	v_mad_u64_u32 v[10:11], s[2:3], s17, v70, v[10:11]
	v_mov_b32_e32 v45, v54
	v_lshl_add_u64 v[12:13], v[12:13], 3, v[4:5]
	v_mov_b32_e32 v53, v10
	v_lshl_add_u64 v[10:11], v[44:45], 3, v[4:5]
	v_lshl_add_u64 v[44:45], v[52:53], 3, v[4:5]
	v_add_u32_e32 v71, 0x1a0, v6
	v_mad_u64_u32 v[56:57], s[2:3], s16, v71, 0
	v_add_u32_e32 v7, 0x9c, v6
	s_mov_b32 s1, 0x1a41a41b
	s_movk_i32 s0, 0x138
	s_waitcnt vmcnt(4) lgkmcnt(4)
	v_pk_mul_f32 v[46:47], v[24:25], v[18:19] op_sel:[0,1]
	s_waitcnt vmcnt(3)
	v_pk_mul_f32 v[48:49], v[26:27], v[20:21] op_sel:[0,1]
	v_pk_fma_f32 v[50:51], v[24:25], v[18:19], v[46:47] op_sel:[0,0,1] op_sel_hi:[1,1,0] neg_lo:[0,0,1] neg_hi:[0,0,1]
	v_pk_fma_f32 v[18:19], v[24:25], v[18:19], v[46:47] op_sel:[0,0,1] op_sel_hi:[1,0,0]
	v_pk_fma_f32 v[24:25], v[26:27], v[20:21], v[48:49] op_sel:[0,0,1] op_sel_hi:[1,1,0] neg_lo:[0,0,1] neg_hi:[0,0,1]
	v_pk_fma_f32 v[20:21], v[26:27], v[20:21], v[48:49] op_sel:[0,0,1] op_sel_hi:[1,0,0]
	v_mov_b32_e32 v51, v19
	v_mov_b32_e32 v25, v21
	s_waitcnt lgkmcnt(3)
	v_pk_add_f32 v[18:19], v[38:39], v[50:51] neg_lo:[0,1] neg_hi:[0,1]
	s_waitcnt lgkmcnt(0)
	v_mov_b32_e32 v39, v68
	v_pk_add_f32 v[20:21], v[40:41], v[24:25] neg_lo:[0,1] neg_hi:[0,1]
	v_mov_b32_e32 v41, v67
	v_pk_fma_f32 v[24:25], v[38:39], 2.0, v[18:19] op_sel_hi:[1,0,1] neg_lo:[0,0,1] neg_hi:[0,0,1]
	v_pk_fma_f32 v[26:27], v[40:41], 2.0, v[20:21] op_sel_hi:[1,0,1] neg_lo:[0,0,1] neg_hi:[0,0,1]
	global_store_dwordx2 v[12:13], v[24:25], off
	global_store_dwordx2 v[42:43], v[18:19], off
	;; [unrolled: 1-line block ×4, first 2 shown]
	s_waitcnt vmcnt(6)
	v_pk_mul_f32 v[18:19], v[32:33], v[14:15] op_sel:[0,1]
	v_mov_b32_e32 v12, v57
	v_pk_fma_f32 v[20:21], v[32:33], v[14:15], v[18:19] op_sel:[0,0,1] op_sel_hi:[1,1,0] neg_lo:[0,0,1] neg_hi:[0,0,1]
	v_pk_fma_f32 v[14:15], v[32:33], v[14:15], v[18:19] op_sel:[0,0,1] op_sel_hi:[1,0,0]
	v_add_co_u32_e32 v18, vcc, 0x1000, v22
	v_mov_b32_e32 v21, v15
	s_nop 0
	v_addc_co_u32_e32 v19, vcc, 0, v23, vcc
	global_load_dwordx2 v[18:19], v[18:19], off offset:376
	v_mad_u64_u32 v[12:13], s[2:3], s17, v71, v[12:13]
	v_pk_add_f32 v[14:15], v[36:37], v[20:21] neg_lo:[0,1] neg_hi:[0,1]
	v_mov_b32_e32 v37, v66
	v_mov_b32_e32 v57, v12
	v_pk_fma_f32 v[20:21], v[36:37], 2.0, v[14:15] op_sel_hi:[1,0,1] neg_lo:[0,0,1] neg_hi:[0,0,1]
	v_lshl_add_u64 v[12:13], v[56:57], 3, v[4:5]
	global_store_dwordx2 v[10:11], v[20:21], off
	global_store_dwordx2 v[12:13], v[14:15], off
	v_mad_u64_u32 v[10:11], s[2:3], s16, v7, 0
	v_mov_b32_e32 v12, v11
	v_mad_u64_u32 v[12:13], s[2:3], s17, v7, v[12:13]
	v_add_u32_e32 v7, 0x1d4, v6
	v_mov_b32_e32 v11, v12
	v_mad_u64_u32 v[12:13], s[2:3], s16, v7, 0
	v_mov_b32_e32 v14, v13
	v_mad_u64_u32 v[14:15], s[2:3], s17, v7, v[14:15]
	v_mov_b32_e32 v13, v14
	s_waitcnt vmcnt(8)
	v_pk_mul_f32 v[14:15], v[58:59], v[16:17] op_sel:[0,1]
	v_lshl_add_u64 v[10:11], v[10:11], 3, v[4:5]
	v_pk_fma_f32 v[20:21], v[58:59], v[16:17], v[14:15] op_sel:[0,0,1] op_sel_hi:[1,1,0] neg_lo:[0,0,1] neg_hi:[0,0,1]
	v_pk_fma_f32 v[14:15], v[58:59], v[16:17], v[14:15] op_sel:[0,0,1] op_sel_hi:[1,0,0]
	v_add_u32_e32 v7, 0xd0, v6
	v_mov_b32_e32 v21, v15
	v_pk_add_f32 v[14:15], v[34:35], v[20:21] neg_lo:[0,1] neg_hi:[0,1]
	v_mov_b32_e32 v35, v65
	v_pk_fma_f32 v[16:17], v[34:35], 2.0, v[14:15] op_sel_hi:[1,0,1] neg_lo:[0,0,1] neg_hi:[0,0,1]
	v_lshl_add_u64 v[12:13], v[12:13], 3, v[4:5]
	global_store_dwordx2 v[10:11], v[16:17], off
	global_store_dwordx2 v[12:13], v[14:15], off
	v_lshrrev_b32_e32 v10, 3, v7
	v_mul_hi_u32 v10, v10, s1
	v_lshrrev_b32_e32 v10, 2, v10
	v_mad_u32_u24 v7, v10, s0, v7
	v_mad_u64_u32 v[10:11], s[2:3], s16, v7, 0
	v_mov_b32_e32 v12, v11
	v_mad_u64_u32 v[12:13], s[2:3], s17, v7, v[12:13]
	v_add_u32_e32 v7, 0x138, v7
	v_mov_b32_e32 v11, v12
	v_mad_u64_u32 v[12:13], s[2:3], s16, v7, 0
	v_mov_b32_e32 v14, v13
	v_mad_u64_u32 v[14:15], s[2:3], s17, v7, v[14:15]
	v_mov_b32_e32 v13, v14
	s_waitcnt vmcnt(9)
	v_pk_mul_f32 v[14:15], v[62:63], v[0:1] op_sel:[0,1]
	v_lshl_add_u64 v[10:11], v[10:11], 3, v[4:5]
	v_pk_fma_f32 v[16:17], v[62:63], v[0:1], v[14:15] op_sel:[0,0,1] op_sel_hi:[1,1,0] neg_lo:[0,0,1] neg_hi:[0,0,1]
	v_pk_fma_f32 v[0:1], v[62:63], v[0:1], v[14:15] op_sel:[0,0,1] op_sel_hi:[1,0,0]
	v_lshl_add_u64 v[12:13], v[12:13], 3, v[4:5]
	v_mov_b32_e32 v17, v1
	v_pk_add_f32 v[0:1], v[30:31], v[16:17] neg_lo:[0,1] neg_hi:[0,1]
	v_mov_b32_e32 v31, v64
	v_pk_fma_f32 v[14:15], v[30:31], 2.0, v[0:1] op_sel_hi:[1,0,1] neg_lo:[0,0,1] neg_hi:[0,0,1]
	global_store_dwordx2 v[10:11], v[14:15], off
	global_store_dwordx2 v[12:13], v[0:1], off
	v_add_u32_e32 v0, 0x104, v6
	v_lshrrev_b32_e32 v1, 3, v0
	v_mul_hi_u32 v1, v1, s1
	v_lshrrev_b32_e32 v1, 2, v1
	v_mad_u32_u24 v10, v1, s0, v0
	v_mad_u64_u32 v[0:1], s[0:1], s16, v10, 0
	v_mov_b32_e32 v6, v1
	v_mad_u64_u32 v[6:7], s[0:1], s17, v10, v[6:7]
	v_add_u32_e32 v11, 0x138, v10
	v_mov_b32_e32 v1, v6
	v_mad_u64_u32 v[6:7], s[0:1], s16, v11, 0
	v_mov_b32_e32 v10, v7
	v_mad_u64_u32 v[10:11], s[0:1], s17, v11, v[10:11]
	v_mov_b32_e32 v7, v10
	v_lshl_add_u64 v[0:1], v[0:1], 3, v[4:5]
	v_lshl_add_u64 v[4:5], v[6:7], 3, v[4:5]
	s_waitcnt vmcnt(6)
	v_pk_mul_f32 v[6:7], v[18:19], v[2:3] op_sel:[0,1]
	s_nop 0
	v_pk_fma_f32 v[10:11], v[18:19], v[2:3], v[6:7] op_sel:[0,0,1] op_sel_hi:[1,1,0] neg_lo:[0,0,1] neg_hi:[0,0,1]
	v_pk_fma_f32 v[2:3], v[18:19], v[2:3], v[6:7] op_sel:[0,0,1] op_sel_hi:[1,0,0]
	s_nop 0
	v_mov_b32_e32 v11, v3
	v_pk_add_f32 v[2:3], v[8:9], v[10:11] neg_lo:[0,1] neg_hi:[0,1]
	v_mov_b32_e32 v9, v61
	v_pk_fma_f32 v[6:7], v[8:9], 2.0, v[2:3] op_sel_hi:[1,0,1] neg_lo:[0,0,1] neg_hi:[0,0,1]
	global_store_dwordx2 v[0:1], v[6:7], off
	global_store_dwordx2 v[4:5], v[2:3], off
.LBB0_15:
	s_endpgm
	.section	.rodata,"a",@progbits
	.p2align	6, 0x0
	.amdhsa_kernel fft_rtc_fwd_len624_factors_13_4_6_2_wgs_52_tpt_52_sp_op_CI_CI_sbrr_dirReg
		.amdhsa_group_segment_fixed_size 0
		.amdhsa_private_segment_fixed_size 0
		.amdhsa_kernarg_size 104
		.amdhsa_user_sgpr_count 2
		.amdhsa_user_sgpr_dispatch_ptr 0
		.amdhsa_user_sgpr_queue_ptr 0
		.amdhsa_user_sgpr_kernarg_segment_ptr 1
		.amdhsa_user_sgpr_dispatch_id 0
		.amdhsa_user_sgpr_kernarg_preload_length 0
		.amdhsa_user_sgpr_kernarg_preload_offset 0
		.amdhsa_user_sgpr_private_segment_size 0
		.amdhsa_uses_dynamic_stack 0
		.amdhsa_enable_private_segment 0
		.amdhsa_system_sgpr_workgroup_id_x 1
		.amdhsa_system_sgpr_workgroup_id_y 0
		.amdhsa_system_sgpr_workgroup_id_z 0
		.amdhsa_system_sgpr_workgroup_info 0
		.amdhsa_system_vgpr_workitem_id 0
		.amdhsa_next_free_vgpr 158
		.amdhsa_next_free_sgpr 42
		.amdhsa_accum_offset 160
		.amdhsa_reserve_vcc 1
		.amdhsa_float_round_mode_32 0
		.amdhsa_float_round_mode_16_64 0
		.amdhsa_float_denorm_mode_32 3
		.amdhsa_float_denorm_mode_16_64 3
		.amdhsa_dx10_clamp 1
		.amdhsa_ieee_mode 1
		.amdhsa_fp16_overflow 0
		.amdhsa_tg_split 0
		.amdhsa_exception_fp_ieee_invalid_op 0
		.amdhsa_exception_fp_denorm_src 0
		.amdhsa_exception_fp_ieee_div_zero 0
		.amdhsa_exception_fp_ieee_overflow 0
		.amdhsa_exception_fp_ieee_underflow 0
		.amdhsa_exception_fp_ieee_inexact 0
		.amdhsa_exception_int_div_zero 0
	.end_amdhsa_kernel
	.text
.Lfunc_end0:
	.size	fft_rtc_fwd_len624_factors_13_4_6_2_wgs_52_tpt_52_sp_op_CI_CI_sbrr_dirReg, .Lfunc_end0-fft_rtc_fwd_len624_factors_13_4_6_2_wgs_52_tpt_52_sp_op_CI_CI_sbrr_dirReg
                                        ; -- End function
	.section	.AMDGPU.csdata,"",@progbits
; Kernel info:
; codeLenInByte = 7260
; NumSgprs: 48
; NumVgprs: 158
; NumAgprs: 0
; TotalNumVgprs: 158
; ScratchSize: 0
; MemoryBound: 0
; FloatMode: 240
; IeeeMode: 1
; LDSByteSize: 0 bytes/workgroup (compile time only)
; SGPRBlocks: 5
; VGPRBlocks: 19
; NumSGPRsForWavesPerEU: 48
; NumVGPRsForWavesPerEU: 158
; AccumOffset: 160
; Occupancy: 3
; WaveLimiterHint : 1
; COMPUTE_PGM_RSRC2:SCRATCH_EN: 0
; COMPUTE_PGM_RSRC2:USER_SGPR: 2
; COMPUTE_PGM_RSRC2:TRAP_HANDLER: 0
; COMPUTE_PGM_RSRC2:TGID_X_EN: 1
; COMPUTE_PGM_RSRC2:TGID_Y_EN: 0
; COMPUTE_PGM_RSRC2:TGID_Z_EN: 0
; COMPUTE_PGM_RSRC2:TIDIG_COMP_CNT: 0
; COMPUTE_PGM_RSRC3_GFX90A:ACCUM_OFFSET: 39
; COMPUTE_PGM_RSRC3_GFX90A:TG_SPLIT: 0
	.text
	.p2alignl 6, 3212836864
	.fill 256, 4, 3212836864
	.type	__hip_cuid_f73de50609cd6dbf,@object ; @__hip_cuid_f73de50609cd6dbf
	.section	.bss,"aw",@nobits
	.globl	__hip_cuid_f73de50609cd6dbf
__hip_cuid_f73de50609cd6dbf:
	.byte	0                               ; 0x0
	.size	__hip_cuid_f73de50609cd6dbf, 1

	.ident	"AMD clang version 19.0.0git (https://github.com/RadeonOpenCompute/llvm-project roc-6.4.0 25133 c7fe45cf4b819c5991fe208aaa96edf142730f1d)"
	.section	".note.GNU-stack","",@progbits
	.addrsig
	.addrsig_sym __hip_cuid_f73de50609cd6dbf
	.amdgpu_metadata
---
amdhsa.kernels:
  - .agpr_count:     0
    .args:
      - .actual_access:  read_only
        .address_space:  global
        .offset:         0
        .size:           8
        .value_kind:     global_buffer
      - .offset:         8
        .size:           8
        .value_kind:     by_value
      - .actual_access:  read_only
        .address_space:  global
        .offset:         16
        .size:           8
        .value_kind:     global_buffer
      - .actual_access:  read_only
        .address_space:  global
        .offset:         24
        .size:           8
        .value_kind:     global_buffer
      - .actual_access:  read_only
        .address_space:  global
        .offset:         32
        .size:           8
        .value_kind:     global_buffer
      - .offset:         40
        .size:           8
        .value_kind:     by_value
      - .actual_access:  read_only
        .address_space:  global
        .offset:         48
        .size:           8
        .value_kind:     global_buffer
      - .actual_access:  read_only
        .address_space:  global
        .offset:         56
        .size:           8
        .value_kind:     global_buffer
      - .offset:         64
        .size:           4
        .value_kind:     by_value
      - .actual_access:  read_only
        .address_space:  global
        .offset:         72
        .size:           8
        .value_kind:     global_buffer
      - .actual_access:  read_only
        .address_space:  global
        .offset:         80
        .size:           8
        .value_kind:     global_buffer
      - .actual_access:  read_only
        .address_space:  global
        .offset:         88
        .size:           8
        .value_kind:     global_buffer
      - .actual_access:  write_only
        .address_space:  global
        .offset:         96
        .size:           8
        .value_kind:     global_buffer
    .group_segment_fixed_size: 0
    .kernarg_segment_align: 8
    .kernarg_segment_size: 104
    .language:       OpenCL C
    .language_version:
      - 2
      - 0
    .max_flat_workgroup_size: 52
    .name:           fft_rtc_fwd_len624_factors_13_4_6_2_wgs_52_tpt_52_sp_op_CI_CI_sbrr_dirReg
    .private_segment_fixed_size: 0
    .sgpr_count:     48
    .sgpr_spill_count: 0
    .symbol:         fft_rtc_fwd_len624_factors_13_4_6_2_wgs_52_tpt_52_sp_op_CI_CI_sbrr_dirReg.kd
    .uniform_work_group_size: 1
    .uses_dynamic_stack: false
    .vgpr_count:     158
    .vgpr_spill_count: 0
    .wavefront_size: 64
amdhsa.target:   amdgcn-amd-amdhsa--gfx950
amdhsa.version:
  - 1
  - 2
...

	.end_amdgpu_metadata
